;; amdgpu-corpus repo=ROCm/rocFFT kind=compiled arch=gfx906 opt=O3
	.text
	.amdgcn_target "amdgcn-amd-amdhsa--gfx906"
	.amdhsa_code_object_version 6
	.protected	fft_rtc_fwd_len156_factors_3_4_13_wgs_117_tpt_13_sp_op_CI_CI_unitstride_sbrr_dirReg ; -- Begin function fft_rtc_fwd_len156_factors_3_4_13_wgs_117_tpt_13_sp_op_CI_CI_unitstride_sbrr_dirReg
	.globl	fft_rtc_fwd_len156_factors_3_4_13_wgs_117_tpt_13_sp_op_CI_CI_unitstride_sbrr_dirReg
	.p2align	8
	.type	fft_rtc_fwd_len156_factors_3_4_13_wgs_117_tpt_13_sp_op_CI_CI_unitstride_sbrr_dirReg,@function
fft_rtc_fwd_len156_factors_3_4_13_wgs_117_tpt_13_sp_op_CI_CI_unitstride_sbrr_dirReg: ; @fft_rtc_fwd_len156_factors_3_4_13_wgs_117_tpt_13_sp_op_CI_CI_unitstride_sbrr_dirReg
; %bb.0:
	s_load_dwordx4 s[8:11], s[4:5], 0x58
	s_load_dwordx4 s[12:15], s[4:5], 0x0
	;; [unrolled: 1-line block ×3, first 2 shown]
	v_mul_u32_u24_e32 v1, 0x13b2, v0
	v_lshrrev_b32_e32 v1, 16, v1
	v_mad_u64_u32 v[1:2], s[0:1], s6, 9, v[1:2]
	v_mov_b32_e32 v5, 0
	v_mov_b32_e32 v3, 0
	;; [unrolled: 1-line block ×3, first 2 shown]
	s_waitcnt lgkmcnt(0)
	v_cmp_lt_u64_e64 s[0:1], s[14:15], 2
	v_mov_b32_e32 v4, 0
	v_mov_b32_e32 v25, v4
	;; [unrolled: 1-line block ×3, first 2 shown]
	s_and_b64 vcc, exec, s[0:1]
	v_mov_b32_e32 v24, v3
	v_mov_b32_e32 v27, v1
	s_cbranch_vccnz .LBB0_8
; %bb.1:
	s_load_dwordx2 s[0:1], s[4:5], 0x10
	s_add_u32 s2, s18, 8
	s_addc_u32 s3, s19, 0
	s_add_u32 s6, s16, 8
	v_mov_b32_e32 v3, 0
	s_addc_u32 s7, s17, 0
	v_mov_b32_e32 v4, 0
	s_waitcnt lgkmcnt(0)
	s_add_u32 s20, s0, 8
	v_mov_b32_e32 v25, v4
	v_mov_b32_e32 v8, v2
	s_addc_u32 s21, s1, 0
	s_mov_b64 s[22:23], 1
	v_mov_b32_e32 v24, v3
	v_mov_b32_e32 v7, v1
.LBB0_2:                                ; =>This Inner Loop Header: Depth=1
	s_load_dwordx2 s[24:25], s[20:21], 0x0
                                        ; implicit-def: $vgpr27_vgpr28
	s_waitcnt lgkmcnt(0)
	v_or_b32_e32 v6, s25, v8
	v_cmp_ne_u64_e32 vcc, 0, v[5:6]
	s_and_saveexec_b64 s[0:1], vcc
	s_xor_b64 s[26:27], exec, s[0:1]
	s_cbranch_execz .LBB0_4
; %bb.3:                                ;   in Loop: Header=BB0_2 Depth=1
	v_cvt_f32_u32_e32 v2, s24
	v_cvt_f32_u32_e32 v6, s25
	s_sub_u32 s0, 0, s24
	s_subb_u32 s1, 0, s25
	v_mac_f32_e32 v2, 0x4f800000, v6
	v_rcp_f32_e32 v2, v2
	v_mul_f32_e32 v2, 0x5f7ffffc, v2
	v_mul_f32_e32 v6, 0x2f800000, v2
	v_trunc_f32_e32 v6, v6
	v_mac_f32_e32 v2, 0xcf800000, v6
	v_cvt_u32_f32_e32 v6, v6
	v_cvt_u32_f32_e32 v2, v2
	v_mul_lo_u32 v9, s0, v6
	v_mul_hi_u32 v10, s0, v2
	v_mul_lo_u32 v12, s1, v2
	v_mul_lo_u32 v11, s0, v2
	v_add_u32_e32 v9, v10, v9
	v_add_u32_e32 v9, v9, v12
	v_mul_hi_u32 v10, v2, v11
	v_mul_lo_u32 v12, v2, v9
	v_mul_hi_u32 v14, v2, v9
	v_mul_hi_u32 v13, v6, v11
	v_mul_lo_u32 v11, v6, v11
	v_mul_hi_u32 v15, v6, v9
	v_add_co_u32_e32 v10, vcc, v10, v12
	v_addc_co_u32_e32 v12, vcc, 0, v14, vcc
	v_mul_lo_u32 v9, v6, v9
	v_add_co_u32_e32 v10, vcc, v10, v11
	v_addc_co_u32_e32 v10, vcc, v12, v13, vcc
	v_addc_co_u32_e32 v11, vcc, 0, v15, vcc
	v_add_co_u32_e32 v9, vcc, v10, v9
	v_addc_co_u32_e32 v10, vcc, 0, v11, vcc
	v_add_co_u32_e32 v2, vcc, v2, v9
	v_addc_co_u32_e32 v6, vcc, v6, v10, vcc
	v_mul_lo_u32 v9, s0, v6
	v_mul_hi_u32 v10, s0, v2
	v_mul_lo_u32 v11, s1, v2
	v_mul_lo_u32 v12, s0, v2
	v_add_u32_e32 v9, v10, v9
	v_add_u32_e32 v9, v9, v11
	v_mul_lo_u32 v13, v2, v9
	v_mul_hi_u32 v14, v2, v12
	v_mul_hi_u32 v15, v2, v9
	;; [unrolled: 1-line block ×3, first 2 shown]
	v_mul_lo_u32 v12, v6, v12
	v_mul_hi_u32 v10, v6, v9
	v_add_co_u32_e32 v13, vcc, v14, v13
	v_addc_co_u32_e32 v14, vcc, 0, v15, vcc
	v_mul_lo_u32 v9, v6, v9
	v_add_co_u32_e32 v12, vcc, v13, v12
	v_addc_co_u32_e32 v11, vcc, v14, v11, vcc
	v_addc_co_u32_e32 v10, vcc, 0, v10, vcc
	v_add_co_u32_e32 v9, vcc, v11, v9
	v_addc_co_u32_e32 v10, vcc, 0, v10, vcc
	v_add_co_u32_e32 v2, vcc, v2, v9
	v_addc_co_u32_e32 v6, vcc, v6, v10, vcc
	v_mad_u64_u32 v[9:10], s[0:1], v7, v6, 0
	v_mul_hi_u32 v11, v7, v2
	v_add_co_u32_e32 v13, vcc, v11, v9
	v_addc_co_u32_e32 v14, vcc, 0, v10, vcc
	v_mad_u64_u32 v[9:10], s[0:1], v8, v2, 0
	v_mad_u64_u32 v[11:12], s[0:1], v8, v6, 0
	v_add_co_u32_e32 v2, vcc, v13, v9
	v_addc_co_u32_e32 v2, vcc, v14, v10, vcc
	v_addc_co_u32_e32 v6, vcc, 0, v12, vcc
	v_add_co_u32_e32 v2, vcc, v2, v11
	v_addc_co_u32_e32 v6, vcc, 0, v6, vcc
	v_mul_lo_u32 v11, s25, v2
	v_mul_lo_u32 v12, s24, v6
	v_mad_u64_u32 v[9:10], s[0:1], s24, v2, 0
	v_add3_u32 v10, v10, v12, v11
	v_sub_u32_e32 v11, v8, v10
	v_mov_b32_e32 v12, s25
	v_sub_co_u32_e32 v9, vcc, v7, v9
	v_subb_co_u32_e64 v11, s[0:1], v11, v12, vcc
	v_subrev_co_u32_e64 v12, s[0:1], s24, v9
	v_subbrev_co_u32_e64 v11, s[0:1], 0, v11, s[0:1]
	v_cmp_le_u32_e64 s[0:1], s25, v11
	v_cndmask_b32_e64 v13, 0, -1, s[0:1]
	v_cmp_le_u32_e64 s[0:1], s24, v12
	v_cndmask_b32_e64 v12, 0, -1, s[0:1]
	v_cmp_eq_u32_e64 s[0:1], s25, v11
	v_cndmask_b32_e64 v11, v13, v12, s[0:1]
	v_add_co_u32_e64 v12, s[0:1], 2, v2
	v_addc_co_u32_e64 v13, s[0:1], 0, v6, s[0:1]
	v_add_co_u32_e64 v14, s[0:1], 1, v2
	v_addc_co_u32_e64 v15, s[0:1], 0, v6, s[0:1]
	v_subb_co_u32_e32 v10, vcc, v8, v10, vcc
	v_cmp_ne_u32_e64 s[0:1], 0, v11
	v_cmp_le_u32_e32 vcc, s25, v10
	v_cndmask_b32_e64 v11, v15, v13, s[0:1]
	v_cndmask_b32_e64 v13, 0, -1, vcc
	v_cmp_le_u32_e32 vcc, s24, v9
	v_cndmask_b32_e64 v9, 0, -1, vcc
	v_cmp_eq_u32_e32 vcc, s25, v10
	v_cndmask_b32_e32 v9, v13, v9, vcc
	v_cmp_ne_u32_e32 vcc, 0, v9
	v_cndmask_b32_e32 v28, v6, v11, vcc
	v_cndmask_b32_e64 v6, v14, v12, s[0:1]
	v_cndmask_b32_e32 v27, v2, v6, vcc
.LBB0_4:                                ;   in Loop: Header=BB0_2 Depth=1
	s_andn2_saveexec_b64 s[0:1], s[26:27]
	s_cbranch_execz .LBB0_6
; %bb.5:                                ;   in Loop: Header=BB0_2 Depth=1
	v_cvt_f32_u32_e32 v2, s24
	s_sub_i32 s26, 0, s24
	v_mov_b32_e32 v28, v5
	v_rcp_iflag_f32_e32 v2, v2
	v_mul_f32_e32 v2, 0x4f7ffffe, v2
	v_cvt_u32_f32_e32 v2, v2
	v_mul_lo_u32 v6, s26, v2
	v_mul_hi_u32 v6, v2, v6
	v_add_u32_e32 v2, v2, v6
	v_mul_hi_u32 v2, v7, v2
	v_mul_lo_u32 v6, v2, s24
	v_add_u32_e32 v9, 1, v2
	v_sub_u32_e32 v6, v7, v6
	v_subrev_u32_e32 v10, s24, v6
	v_cmp_le_u32_e32 vcc, s24, v6
	v_cndmask_b32_e32 v6, v6, v10, vcc
	v_cndmask_b32_e32 v2, v2, v9, vcc
	v_add_u32_e32 v9, 1, v2
	v_cmp_le_u32_e32 vcc, s24, v6
	v_cndmask_b32_e32 v27, v2, v9, vcc
.LBB0_6:                                ;   in Loop: Header=BB0_2 Depth=1
	s_or_b64 exec, exec, s[0:1]
	v_mul_lo_u32 v2, v28, s24
	v_mul_lo_u32 v6, v27, s25
	v_mad_u64_u32 v[9:10], s[0:1], v27, s24, 0
	s_load_dwordx2 s[0:1], s[6:7], 0x0
	s_load_dwordx2 s[24:25], s[2:3], 0x0
	v_add3_u32 v2, v10, v6, v2
	v_sub_co_u32_e32 v6, vcc, v7, v9
	v_subb_co_u32_e32 v2, vcc, v8, v2, vcc
	s_waitcnt lgkmcnt(0)
	v_mul_lo_u32 v7, s0, v2
	v_mul_lo_u32 v8, s1, v6
	v_mad_u64_u32 v[3:4], s[0:1], s0, v6, v[3:4]
	s_add_u32 s22, s22, 1
	s_addc_u32 s23, s23, 0
	s_add_u32 s2, s2, 8
	v_mul_lo_u32 v2, s24, v2
	v_mul_lo_u32 v9, s25, v6
	v_mad_u64_u32 v[24:25], s[0:1], s24, v6, v[24:25]
	v_add3_u32 v4, v8, v4, v7
	s_addc_u32 s3, s3, 0
	v_mov_b32_e32 v6, s14
	s_add_u32 s6, s6, 8
	v_mov_b32_e32 v7, s15
	s_addc_u32 s7, s7, 0
	v_cmp_ge_u64_e32 vcc, s[22:23], v[6:7]
	s_add_u32 s20, s20, 8
	v_add3_u32 v25, v9, v25, v2
	s_addc_u32 s21, s21, 0
	s_cbranch_vccnz .LBB0_8
; %bb.7:                                ;   in Loop: Header=BB0_2 Depth=1
	v_mov_b32_e32 v7, v27
	v_mov_b32_e32 v8, v28
	s_branch .LBB0_2
.LBB0_8:
	s_load_dwordx2 s[0:1], s[4:5], 0x28
	s_lshl_b64 s[6:7], s[14:15], 3
	s_add_u32 s2, s18, s6
	s_addc_u32 s3, s19, s7
                                        ; implicit-def: $vgpr26
	s_waitcnt lgkmcnt(0)
	v_cmp_gt_u64_e32 vcc, s[0:1], v[27:28]
	v_cmp_le_u64_e64 s[0:1], s[0:1], v[27:28]
	s_and_saveexec_b64 s[4:5], s[0:1]
	s_xor_b64 s[0:1], exec, s[4:5]
; %bb.9:
	s_mov_b32 s4, 0x13b13b14
	v_mul_hi_u32 v2, v0, s4
                                        ; implicit-def: $vgpr3_vgpr4
	v_mul_u32_u24_e32 v2, 13, v2
	v_sub_u32_e32 v26, v0, v2
                                        ; implicit-def: $vgpr0
; %bb.10:
	s_or_saveexec_b64 s[4:5], s[0:1]
                                        ; implicit-def: $vgpr5
                                        ; implicit-def: $vgpr30
                                        ; implicit-def: $vgpr32
                                        ; implicit-def: $vgpr7
                                        ; implicit-def: $vgpr17
                                        ; implicit-def: $vgpr23
                                        ; implicit-def: $vgpr9
                                        ; implicit-def: $vgpr21
                                        ; implicit-def: $vgpr11
                                        ; implicit-def: $vgpr13
                                        ; implicit-def: $vgpr15
                                        ; implicit-def: $vgpr19
	s_xor_b64 exec, exec, s[4:5]
	s_cbranch_execz .LBB0_12
; %bb.11:
	s_add_u32 s0, s16, s6
	s_addc_u32 s1, s17, s7
	s_load_dwordx2 s[0:1], s[0:1], 0x0
	s_mov_b32 s6, 0x13b13b14
	v_mul_hi_u32 v2, v0, s6
	s_waitcnt lgkmcnt(0)
	v_mul_lo_u32 v7, s1, v27
	v_mul_lo_u32 v8, s0, v28
	v_mad_u64_u32 v[5:6], s[0:1], s0, v27, 0
	v_mul_u32_u24_e32 v2, 13, v2
	v_sub_u32_e32 v26, v0, v2
	v_add3_u32 v6, v6, v8, v7
	v_lshlrev_b64 v[5:6], 3, v[5:6]
	v_mov_b32_e32 v0, s9
	v_add_co_u32_e64 v5, s[0:1], s8, v5
	v_lshlrev_b64 v[2:3], 3, v[3:4]
	v_addc_co_u32_e64 v0, s[0:1], v0, v6, s[0:1]
	v_add_co_u32_e64 v2, s[0:1], v5, v2
	v_addc_co_u32_e64 v0, s[0:1], v0, v3, s[0:1]
	v_lshlrev_b32_e32 v3, 3, v26
	v_add_co_u32_e64 v2, s[0:1], v2, v3
	v_addc_co_u32_e64 v3, s[0:1], 0, v0, s[0:1]
	global_load_dwordx2 v[4:5], v[2:3], off
	global_load_dwordx2 v[6:7], v[2:3], off offset:104
	global_load_dwordx2 v[8:9], v[2:3], off offset:208
	;; [unrolled: 1-line block ×11, first 2 shown]
.LBB0_12:
	s_or_b64 exec, exec, s[4:5]
	s_mov_b32 s0, 0x38e38e39
	v_mul_hi_u32 v33, v1, s0
	s_waitcnt vmcnt(7)
	v_add_f32_e32 v0, v4, v29
	s_waitcnt vmcnt(3)
	v_add_f32_e32 v2, v0, v31
	v_add_f32_e32 v0, v5, v30
	;; [unrolled: 1-line block ×4, first 2 shown]
	v_sub_f32_e32 v29, v29, v31
	v_lshrrev_b32_e32 v31, 1, v33
	v_lshl_add_u32 v31, v31, 3, v31
	v_sub_u32_e32 v1, v1, v31
	v_sub_f32_e32 v34, v30, v32
	v_add_f32_e32 v30, v30, v32
	v_mul_u32_u24_e32 v31, 0x9c, v1
	v_fmac_f32_e32 v4, -0.5, v0
	v_fmac_f32_e32 v5, -0.5, v30
	v_lshlrev_b32_e32 v30, 3, v31
	v_mov_b32_e32 v0, v4
	v_mov_b32_e32 v1, v5
	v_add_u32_e32 v31, 0, v30
	v_fmac_f32_e32 v0, 0x3f5db3d7, v34
	v_fmac_f32_e32 v1, 0xbf5db3d7, v29
	v_mad_u32_u24 v32, v26, 24, v31
	ds_write2_b64 v32, v[2:3], v[0:1] offset1:1
	v_add_f32_e32 v3, v9, v19
	s_waitcnt vmcnt(1)
	v_sub_f32_e32 v36, v19, v21
	v_add_f32_e32 v19, v21, v19
	v_add_f32_e32 v1, v7, v17
	v_sub_f32_e32 v35, v17, v23
	v_add_f32_e32 v17, v17, v23
	v_add_f32_e32 v2, v8, v18
	v_fmac_f32_e32 v9, -0.5, v19
	v_add_f32_e32 v0, v6, v16
	v_add_f32_e32 v1, v1, v23
	;; [unrolled: 1-line block ×5, first 2 shown]
	v_sub_f32_e32 v20, v18, v20
	v_fmac_f32_e32 v7, -0.5, v17
	v_mov_b32_e32 v19, v9
	s_waitcnt vmcnt(0)
	v_add_f32_e32 v21, v12, v14
	v_add_f32_e32 v0, v0, v22
	;; [unrolled: 1-line block ×3, first 2 shown]
	v_sub_f32_e32 v22, v16, v22
	v_mov_b32_e32 v17, v7
	v_fmac_f32_e32 v19, 0xbf5db3d7, v20
	v_fmac_f32_e32 v9, 0x3f5db3d7, v20
	v_add_f32_e32 v20, v10, v12
	v_fmac_f32_e32 v10, -0.5, v21
	v_fmac_f32_e32 v17, 0xbf5db3d7, v22
	v_fmac_f32_e32 v7, 0x3f5db3d7, v22
	v_sub_f32_e32 v21, v13, v15
	v_mov_b32_e32 v22, v10
	v_fmac_f32_e32 v6, -0.5, v33
	v_fmac_f32_e32 v22, 0x3f5db3d7, v21
	v_fmac_f32_e32 v10, 0xbf5db3d7, v21
	v_add_f32_e32 v21, v11, v13
	v_add_f32_e32 v13, v13, v15
	v_mov_b32_e32 v16, v6
	v_fmac_f32_e32 v8, -0.5, v23
	v_fmac_f32_e32 v11, -0.5, v13
	v_fmac_f32_e32 v16, 0x3f5db3d7, v35
	v_mov_b32_e32 v18, v8
	v_sub_f32_e32 v12, v12, v14
	v_mov_b32_e32 v13, v11
	s_movk_i32 s0, 0xab
	v_fmac_f32_e32 v4, 0xbf5db3d7, v34
	v_fmac_f32_e32 v5, 0x3f5db3d7, v29
	;; [unrolled: 1-line block ×5, first 2 shown]
	v_add_f32_e32 v20, v20, v14
	v_add_f32_e32 v21, v21, v15
	s_load_dwordx2 s[4:5], s[2:3], 0x0
	v_fmac_f32_e32 v13, 0xbf5db3d7, v12
	v_fmac_f32_e32 v11, 0x3f5db3d7, v12
	ds_write2_b64 v32, v[0:1], v[16:17] offset0:39 offset1:40
	ds_write2_b64 v32, v[4:5], v[6:7] offset0:2 offset1:41
	;; [unrolled: 1-line block ×4, first 2 shown]
	ds_write2_b32 v32, v22, v13 offset0:236 offset1:237
	ds_write2_b32 v32, v10, v11 offset0:238 offset1:239
	v_mul_lo_u16_sdwa v0, v26, s0 dst_sel:DWORD dst_unused:UNUSED_PAD src0_sel:BYTE_0 src1_sel:DWORD
	v_lshrrev_b16_e32 v32, 9, v0
	v_mul_lo_u16_e32 v0, 3, v32
	v_sub_u16_e32 v33, v26, v0
	v_mul_lo_u16_e32 v0, 3, v33
	v_mov_b32_e32 v8, 3
	v_lshlrev_b32_sdwa v9, v8, v0 dst_sel:DWORD dst_unused:UNUSED_PAD src0_sel:DWORD src1_sel:BYTE_0
	v_add_u16_e32 v0, 26, v26
	v_mul_lo_u16_sdwa v1, v0, s0 dst_sel:DWORD dst_unused:UNUSED_PAD src0_sel:BYTE_0 src1_sel:DWORD
	s_waitcnt lgkmcnt(0)
	s_barrier
	v_lshrrev_b16_e32 v34, 9, v1
	global_load_dwordx2 v[16:17], v9, s[12:13] offset:16
	v_mul_lo_u16_e32 v1, 3, v34
	v_sub_u16_e32 v35, v0, v1
	v_mul_u32_u24_sdwa v0, v35, v8 dst_sel:DWORD dst_unused:UNUSED_PAD src0_sel:BYTE_0 src1_sel:DWORD
	v_lshlrev_b32_e32 v12, 3, v0
	global_load_dwordx4 v[0:3], v12, s[12:13]
	global_load_dwordx4 v[4:7], v9, s[12:13]
	v_add_u16_e32 v9, 13, v26
	v_mul_lo_u16_sdwa v10, v9, s0 dst_sel:DWORD dst_unused:UNUSED_PAD src0_sel:BYTE_0 src1_sel:DWORD
	v_lshrrev_b16_e32 v36, 9, v10
	v_mul_lo_u16_e32 v10, 3, v36
	v_sub_u16_e32 v37, v9, v10
	v_mul_lo_u16_e32 v9, 3, v37
	v_lshlrev_b32_sdwa v13, v8, v9 dst_sel:DWORD dst_unused:UNUSED_PAD src0_sel:DWORD src1_sel:BYTE_0
	global_load_dwordx4 v[8:11], v13, s[12:13]
	global_load_dwordx2 v[18:19], v13, s[12:13] offset:16
	global_load_dwordx2 v[20:21], v12, s[12:13] offset:16
	v_lshlrev_b32_e32 v23, 3, v26
	v_add3_u32 v22, 0, v23, v30
	ds_read2_b64 v[12:15], v22 offset0:104 offset1:117
	v_add_u32_e32 v23, v31, v23
	v_mul_lo_u16_e32 v32, 12, v32
	v_or_b32_e32 v32, v32, v33
	v_and_b32_e32 v32, 0xff, v32
	v_lshl_add_u32 v32, v32, 3, v31
	v_cmp_gt_u32_e64 s[0:1], 12, v26
	s_waitcnt vmcnt(5) lgkmcnt(0)
	v_mul_f32_e32 v29, v17, v15
	v_mul_f32_e32 v30, v17, v14
	v_fma_f32 v29, v16, v14, -v29
	v_fmac_f32_e32 v30, v16, v15
	ds_read2_b64 v[14:17], v22 offset0:65 offset1:78
	s_waitcnt vmcnt(4)
	v_mul_f32_e32 v38, v13, v3
	v_fma_f32 v38, v12, v2, -v38
	v_mul_f32_e32 v12, v12, v3
	v_fmac_f32_e32 v12, v13, v2
	s_waitcnt lgkmcnt(0)
	v_mul_f32_e32 v2, v15, v1
	v_fma_f32 v39, v14, v0, -v2
	v_mul_f32_e32 v14, v14, v1
	v_fmac_f32_e32 v14, v15, v0
	ds_read2_b64 v[0:3], v22 offset0:39 offset1:52
	s_waitcnt vmcnt(3)
	v_mul_f32_e32 v13, v7, v17
	v_mul_f32_e32 v15, v7, v16
	v_fma_f32 v13, v6, v16, -v13
	v_fmac_f32_e32 v15, v6, v17
	s_waitcnt lgkmcnt(0)
	v_mul_f32_e32 v6, v5, v1
	v_mul_f32_e32 v17, v5, v0
	v_fma_f32 v16, v4, v0, -v6
	v_fmac_f32_e32 v17, v4, v1
	s_waitcnt vmcnt(2)
	v_mul_f32_e32 v0, v9, v3
	ds_read2_b32 v[4:5], v22 offset0:182 offset1:183
	v_mul_f32_e32 v9, v9, v2
	v_fma_f32 v40, v8, v2, -v0
	v_fmac_f32_e32 v9, v8, v3
	ds_read2_b64 v[0:3], v22 offset0:130 offset1:143
	s_waitcnt lgkmcnt(1)
	v_mul_f32_e32 v6, v5, v11
	v_fma_f32 v8, v10, v4, -v6
	v_mul_f32_e32 v11, v11, v4
	v_fmac_f32_e32 v11, v5, v10
	s_waitcnt vmcnt(1) lgkmcnt(0)
	v_mul_f32_e32 v4, v1, v19
	v_fma_f32 v10, v0, v18, -v4
	v_mul_f32_e32 v19, v0, v19
	ds_read2_b64 v[4:7], v22 offset0:13 offset1:26
	s_waitcnt vmcnt(0)
	v_mul_f32_e32 v0, v3, v21
	v_fmac_f32_e32 v19, v1, v18
	v_fma_f32 v18, v2, v20, -v0
	ds_read_b64 v[0:1], v23
	v_mul_f32_e32 v21, v2, v21
	v_fmac_f32_e32 v21, v3, v20
	s_waitcnt lgkmcnt(1)
	v_sub_f32_e32 v8, v4, v8
	v_sub_f32_e32 v20, v5, v11
	;; [unrolled: 1-line block ×4, first 2 shown]
	v_fma_f32 v12, v4, 2.0, -v8
	v_fma_f32 v42, v5, 2.0, -v20
	;; [unrolled: 1-line block ×4, first 2 shown]
	s_waitcnt lgkmcnt(0)
	v_sub_f32_e32 v6, v0, v13
	v_sub_f32_e32 v7, v1, v15
	;; [unrolled: 1-line block ×4, first 2 shown]
	v_fma_f32 v0, v0, 2.0, -v6
	v_fma_f32 v1, v1, 2.0, -v7
	;; [unrolled: 1-line block ×4, first 2 shown]
	v_sub_f32_e32 v2, v0, v2
	v_sub_f32_e32 v3, v1, v3
	v_sub_f32_e32 v4, v6, v4
	v_add_f32_e32 v5, v7, v5
	v_fma_f32 v29, v0, 2.0, -v2
	v_fma_f32 v30, v1, 2.0, -v3
	;; [unrolled: 1-line block ×4, first 2 shown]
	v_sub_f32_e32 v13, v40, v10
	v_sub_f32_e32 v15, v9, v19
	v_fma_f32 v6, v40, 2.0, -v13
	s_barrier
	ds_write2_b64 v32, v[29:30], v[0:1] offset1:3
	ds_write2_b64 v32, v[2:3], v[4:5] offset0:6 offset1:9
	v_mul_lo_u16_e32 v32, 12, v36
	v_fma_f32 v7, v9, 2.0, -v15
	v_sub_f32_e32 v10, v12, v6
	v_or_b32_e32 v32, v32, v37
	v_sub_f32_e32 v11, v42, v7
	v_fma_f32 v6, v12, 2.0, -v10
	v_sub_f32_e32 v12, v8, v15
	v_add_f32_e32 v13, v20, v13
	v_and_b32_e32 v32, 0xff, v32
	v_fma_f32 v7, v42, 2.0, -v11
	v_fma_f32 v8, v8, 2.0, -v12
	;; [unrolled: 1-line block ×3, first 2 shown]
	v_sub_f32_e32 v16, v39, v18
	v_sub_f32_e32 v17, v14, v21
	v_lshl_add_u32 v32, v32, 3, v31
	v_fma_f32 v15, v39, 2.0, -v16
	v_fma_f32 v14, v14, 2.0, -v17
	ds_write2_b64 v32, v[6:7], v[8:9] offset1:3
	ds_write2_b64 v32, v[10:11], v[12:13] offset0:6 offset1:9
	v_mul_u32_u24_e32 v32, 12, v34
	v_sub_f32_e32 v18, v43, v15
	v_sub_f32_e32 v19, v44, v14
	;; [unrolled: 1-line block ×3, first 2 shown]
	v_add_f32_e32 v21, v41, v16
	v_or_b32_sdwa v32, v32, v35 dst_sel:DWORD dst_unused:UNUSED_PAD src0_sel:DWORD src1_sel:BYTE_0
	v_fma_f32 v14, v43, 2.0, -v18
	v_fma_f32 v15, v44, 2.0, -v19
	;; [unrolled: 1-line block ×4, first 2 shown]
	v_lshl_add_u32 v31, v32, 3, v31
	ds_write2_b64 v31, v[14:15], v[16:17] offset1:3
	ds_write2_b64 v31, v[18:19], v[20:21] offset0:6 offset1:9
	s_waitcnt lgkmcnt(0)
	s_barrier
	s_and_saveexec_b64 s[2:3], s[0:1]
	s_cbranch_execz .LBB0_14
; %bb.13:
	ds_read_b64 v[29:30], v23
	ds_read2_b64 v[0:3], v22 offset0:12 offset1:24
	ds_read2_b64 v[4:7], v22 offset0:36 offset1:48
	;; [unrolled: 1-line block ×6, first 2 shown]
.LBB0_14:
	s_or_b64 exec, exec, s[2:3]
	v_cmp_gt_u32_e64 s[2:3], 12, v26
	s_and_b64 s[2:3], vcc, s[2:3]
	s_and_saveexec_b64 s[6:7], s[2:3]
	s_cbranch_execz .LBB0_16
; %bb.15:
	v_add_u32_e32 v31, -12, v26
	v_cndmask_b32_e64 v31, v31, v26, s[0:1]
	v_mul_i32_i24_e32 v31, 12, v31
	v_mov_b32_e32 v32, 0
	v_lshlrev_b64 v[33:34], 3, v[31:32]
	v_mov_b32_e32 v31, s13
	v_add_co_u32_e32 v33, vcc, s12, v33
	v_addc_co_u32_e32 v34, vcc, v31, v34, vcc
	global_load_dwordx4 v[35:38], v[33:34], off offset:72
	global_load_dwordx4 v[39:42], v[33:34], off offset:152
	;; [unrolled: 1-line block ×6, first 2 shown]
	v_mul_lo_u32 v31, s5, v27
	v_mul_lo_u32 v28, s4, v28
	v_mad_u64_u32 v[33:34], s[0:1], s4, v27, 0
	s_mov_b32 s5, 0x3df6dbef
	s_mov_b32 s0, 0xbf788fa5
	v_add3_u32 v34, v34, v28, v31
	s_mov_b32 s2, 0xbeb58ec6
	s_mov_b32 s4, 0x3f62ad3f
	;; [unrolled: 1-line block ×4, first 2 shown]
	s_waitcnt vmcnt(5) lgkmcnt(5)
	v_mul_f32_e32 v27, v1, v35
	s_waitcnt vmcnt(4) lgkmcnt(0)
	v_mul_f32_e32 v31, v23, v41
	v_mul_f32_e32 v28, v3, v37
	;; [unrolled: 1-line block ×3, first 2 shown]
	s_waitcnt vmcnt(3)
	v_mul_f32_e32 v60, v5, v43
	v_mul_f32_e32 v5, v5, v44
	v_fmac_f32_e32 v27, v0, v36
	v_fmac_f32_e32 v31, v22, v42
	v_mul_f32_e32 v1, v1, v36
	v_mul_f32_e32 v3, v3, v38
	;; [unrolled: 1-line block ×3, first 2 shown]
	s_waitcnt vmcnt(2)
	v_mul_f32_e32 v62, v19, v49
	v_mul_f32_e32 v63, v17, v47
	;; [unrolled: 1-line block ×3, first 2 shown]
	v_fmac_f32_e32 v28, v2, v38
	v_fmac_f32_e32 v59, v20, v40
	v_fma_f32 v38, v4, v43, -v5
	v_add_f32_e32 v5, v31, v27
	v_mul_f32_e32 v21, v21, v40
	v_mul_f32_e32 v19, v19, v50
	v_fma_f32 v35, v0, v35, -v1
	v_fma_f32 v36, v2, v37, -v3
	;; [unrolled: 1-line block ×3, first 2 shown]
	v_fmac_f32_e32 v60, v4, v44
	v_fmac_f32_e32 v62, v18, v50
	v_fma_f32 v41, v16, v47, -v17
	v_add_f32_e32 v2, v59, v28
	v_mul_f32_e32 v17, 0x3df6dbef, v5
	s_waitcnt vmcnt(1)
	v_mul_f32_e32 v64, v9, v51
	v_mul_f32_e32 v9, v9, v52
	v_fma_f32 v37, v20, v39, -v21
	v_fma_f32 v40, v18, v49, -v19
	v_sub_f32_e32 v21, v35, v23
	v_add_f32_e32 v3, v62, v60
	v_mul_f32_e32 v18, 0xbf788fa5, v2
	v_mov_b32_e32 v0, v17
	v_mul_f32_e32 v61, v7, v45
	v_mul_f32_e32 v7, v7, v46
	;; [unrolled: 1-line block ×3, first 2 shown]
	v_fma_f32 v42, v8, v51, -v9
	v_sub_f32_e32 v22, v36, v37
	v_mul_f32_e32 v19, 0xbeb58ec6, v3
	v_mov_b32_e32 v1, v18
	v_fmac_f32_e32 v0, 0x3f7e222b, v21
	v_sub_f32_e32 v51, v27, v31
	v_mul_f32_e32 v11, v11, v54
	s_waitcnt vmcnt(0)
	v_mul_f32_e32 v67, v13, v55
	v_mul_f32_e32 v13, v13, v56
	v_fmac_f32_e32 v61, v6, v46
	v_fma_f32 v39, v6, v45, -v7
	v_fmac_f32_e32 v64, v8, v52
	v_fmac_f32_e32 v65, v10, v54
	v_sub_f32_e32 v46, v38, v40
	v_mov_b32_e32 v7, v19
	v_fmac_f32_e32 v1, 0x3e750f2a, v22
	v_add_f32_e32 v0, v30, v0
	v_mul_f32_e32 v52, 0xbf7e222b, v51
	v_sub_f32_e32 v54, v28, v59
	v_mul_f32_e32 v66, v15, v57
	v_mul_f32_e32 v15, v15, v58
	v_fma_f32 v45, v12, v55, -v13
	v_fmac_f32_e32 v7, 0xbf6f5d39, v46
	v_add_f32_e32 v0, v0, v1
	v_add_f32_e32 v50, v23, v35
	v_mov_b32_e32 v1, v52
	v_mul_f32_e32 v55, 0xbe750f2a, v54
	v_fma_f32 v43, v10, v53, -v11
	v_fma_f32 v44, v14, v57, -v15
	v_add_f32_e32 v0, v0, v7
	v_fmac_f32_e32 v1, 0x3df6dbef, v50
	v_add_f32_e32 v53, v37, v36
	v_mov_b32_e32 v7, v55
	v_sub_f32_e32 v57, v60, v62
	v_fmac_f32_e32 v63, v16, v48
	v_fmac_f32_e32 v66, v14, v58
	v_add_f32_e32 v1, v29, v1
	v_fmac_f32_e32 v7, 0xbf788fa5, v53
	v_mul_f32_e32 v58, 0x3f6f5d39, v57
	v_fmac_f32_e32 v67, v12, v56
	v_add_f32_e32 v1, v1, v7
	v_add_f32_e32 v56, v40, v38
	v_mov_b32_e32 v7, v58
	v_sub_f32_e32 v69, v61, v63
	v_fmac_f32_e32 v7, 0xbeb58ec6, v56
	v_mul_f32_e32 v70, 0x3eedf032, v69
	v_add_f32_e32 v4, v63, v61
	v_add_f32_e32 v1, v1, v7
	;; [unrolled: 1-line block ×3, first 2 shown]
	v_mov_b32_e32 v7, v70
	v_sub_f32_e32 v72, v64, v66
	v_add_f32_e32 v6, v66, v64
	v_mul_f32_e32 v20, 0x3f62ad3f, v4
	v_fmac_f32_e32 v7, 0x3f62ad3f, v68
	v_mul_f32_e32 v73, 0xbf52af12, v72
	v_sub_f32_e32 v47, v39, v41
	v_mul_f32_e32 v49, 0x3f116cb1, v6
	v_mov_b32_e32 v8, v20
	v_add_f32_e32 v1, v1, v7
	v_add_f32_e32 v71, v44, v42
	v_mov_b32_e32 v7, v73
	v_add_f32_e32 v74, v67, v65
	v_sub_f32_e32 v48, v42, v44
	v_mov_b32_e32 v9, v49
	v_fmac_f32_e32 v8, 0xbeedf032, v47
	v_fmac_f32_e32 v7, 0x3f116cb1, v71
	v_mul_f32_e32 v75, 0xbf3f9e67, v74
	v_add_f32_e32 v0, v0, v8
	v_fmac_f32_e32 v9, 0x3f52af12, v48
	v_add_f32_e32 v7, v1, v7
	v_sub_f32_e32 v76, v43, v45
	v_mov_b32_e32 v1, v75
	v_sub_f32_e32 v78, v65, v67
	v_add_f32_e32 v0, v0, v9
	v_fmac_f32_e32 v1, 0x3f29c268, v76
	v_mul_f32_e32 v79, 0xbf29c268, v78
	v_add_f32_e32 v1, v0, v1
	v_add_f32_e32 v77, v45, v43
	v_mov_b32_e32 v0, v79
	v_fmac_f32_e32 v0, 0xbf3f9e67, v77
	v_mul_f32_e32 v15, 0xbeb58ec6, v5
	v_add_f32_e32 v0, v7, v0
	v_mov_b32_e32 v7, v15
	v_mul_f32_e32 v16, 0xbf3f9e67, v2
	v_fmac_f32_e32 v7, 0x3f6f5d39, v21
	v_mov_b32_e32 v8, v16
	v_add_f32_e32 v7, v30, v7
	v_fmac_f32_e32 v8, 0xbf29c268, v22
	v_mul_f32_e32 v80, 0x3f62ad3f, v3
	v_add_f32_e32 v7, v7, v8
	v_mov_b32_e32 v8, v80
	v_fmac_f32_e32 v8, 0xbeedf032, v46
	v_mul_f32_e32 v81, 0x3df6dbef, v4
	v_add_f32_e32 v7, v7, v8
	v_mov_b32_e32 v8, v81
	;; [unrolled: 4-line block ×4, first 2 shown]
	v_mul_f32_e32 v84, 0x3f29c268, v54
	v_fmac_f32_e32 v8, 0xbeb58ec6, v50
	v_mov_b32_e32 v9, v84
	v_add_f32_e32 v8, v29, v8
	v_fmac_f32_e32 v9, 0xbf3f9e67, v53
	v_mul_f32_e32 v85, 0x3eedf032, v57
	v_add_f32_e32 v8, v8, v9
	v_mov_b32_e32 v9, v85
	v_fmac_f32_e32 v9, 0x3f62ad3f, v56
	v_mul_f32_e32 v86, 0xbf7e222b, v69
	v_add_f32_e32 v8, v8, v9
	v_mov_b32_e32 v9, v86
	;; [unrolled: 4-line block ×6, first 2 shown]
	v_mul_f32_e32 v14, 0x3df6dbef, v2
	v_fmac_f32_e32 v9, 0x3f29c268, v21
	v_mov_b32_e32 v10, v14
	v_add_f32_e32 v9, v30, v9
	v_fmac_f32_e32 v10, 0xbf7e222b, v22
	v_mul_f32_e32 v90, 0x3f116cb1, v3
	v_add_f32_e32 v9, v9, v10
	v_mov_b32_e32 v10, v90
	v_fmac_f32_e32 v10, 0x3f52af12, v46
	v_mul_f32_e32 v91, 0xbf788fa5, v4
	v_add_f32_e32 v9, v9, v10
	v_mov_b32_e32 v10, v91
	v_fmac_f32_e32 v10, 0xbe750f2a, v47
	v_mul_f32_e32 v92, 0x3f62ad3f, v6
	v_fmac_f32_e32 v17, 0xbf7e222b, v21
	v_add_f32_e32 v9, v9, v10
	v_mov_b32_e32 v10, v92
	v_add_f32_e32 v17, v30, v17
	v_fmac_f32_e32 v18, 0xbe750f2a, v22
	v_fmac_f32_e32 v10, 0xbeedf032, v48
	v_mul_f32_e32 v93, 0xbf29c268, v51
	v_add_f32_e32 v17, v17, v18
	v_fmac_f32_e32 v19, 0x3f6f5d39, v46
	v_fma_f32 v18, v50, s5, -v52
	v_add_f32_e32 v9, v9, v10
	v_mov_b32_e32 v10, v93
	v_mul_f32_e32 v94, 0x3f7e222b, v54
	v_add_f32_e32 v17, v17, v19
	v_add_f32_e32 v18, v29, v18
	v_fma_f32 v19, v53, s0, -v55
	v_fmac_f32_e32 v10, 0xbf3f9e67, v50
	v_mov_b32_e32 v11, v94
	v_fmac_f32_e32 v20, 0x3eedf032, v47
	v_add_f32_e32 v18, v18, v19
	v_fma_f32 v19, v56, s2, -v58
	v_add_f32_e32 v10, v29, v10
	v_fmac_f32_e32 v11, 0x3df6dbef, v53
	v_mul_f32_e32 v95, 0xbf52af12, v57
	v_add_f32_e32 v17, v17, v20
	v_fmac_f32_e32 v49, 0xbf52af12, v48
	v_add_f32_e32 v18, v18, v19
	v_fma_f32 v19, v68, s4, -v70
	v_add_f32_e32 v10, v10, v11
	v_mov_b32_e32 v11, v95
	v_add_f32_e32 v17, v17, v49
	v_add_f32_e32 v18, v18, v19
	v_fma_f32 v19, v71, s3, -v73
	v_fmac_f32_e32 v75, 0xbf29c268, v76
	v_fmac_f32_e32 v11, 0x3f116cb1, v56
	v_mul_f32_e32 v96, 0x3e750f2a, v69
	v_add_f32_e32 v19, v18, v19
	v_add_f32_e32 v18, v17, v75
	v_fma_f32 v17, v77, s1, -v79
	v_mul_f32_e32 v49, 0xbf52af12, v21
	v_add_f32_e32 v10, v10, v11
	v_mov_b32_e32 v11, v96
	v_add_f32_e32 v17, v19, v17
	v_mov_b32_e32 v19, v49
	v_mul_f32_e32 v52, 0xbf6f5d39, v22
	v_fmac_f32_e32 v11, 0xbf788fa5, v68
	v_mul_f32_e32 v97, 0x3eedf032, v72
	v_fmac_f32_e32 v19, 0x3f116cb1, v5
	v_mov_b32_e32 v20, v52
	v_add_f32_e32 v10, v10, v11
	v_mov_b32_e32 v11, v97
	v_add_f32_e32 v19, v30, v19
	v_fmac_f32_e32 v20, 0xbeb58ec6, v2
	v_mul_f32_e32 v55, 0xbe750f2a, v46
	v_fmac_f32_e32 v11, 0x3f62ad3f, v71
	v_mul_f32_e32 v98, 0xbeb58ec6, v74
	v_add_f32_e32 v19, v19, v20
	v_mov_b32_e32 v20, v55
	v_add_f32_e32 v11, v10, v11
	v_mov_b32_e32 v10, v98
	v_fmac_f32_e32 v15, 0xbf6f5d39, v21
	v_fmac_f32_e32 v20, 0xbf788fa5, v3
	v_mul_f32_e32 v58, 0x3f29c268, v47
	v_fmac_f32_e32 v10, 0x3f6f5d39, v76
	v_mul_f32_e32 v99, 0xbf6f5d39, v78
	v_add_f32_e32 v15, v30, v15
	v_fmac_f32_e32 v16, 0x3f29c268, v22
	v_add_f32_e32 v19, v19, v20
	v_mov_b32_e32 v20, v58
	v_add_f32_e32 v10, v9, v10
	v_mov_b32_e32 v9, v99
	v_add_f32_e32 v15, v15, v16
	v_fmac_f32_e32 v80, 0x3eedf032, v46
	v_fma_f32 v16, v50, s2, -v83
	v_fmac_f32_e32 v20, 0xbf3f9e67, v4
	v_mul_f32_e32 v70, 0x3f7e222b, v48
	v_add_f32_e32 v27, v30, v27
	v_fmac_f32_e32 v9, 0xbeb58ec6, v77
	v_mul_f32_e32 v100, 0xbe750f2a, v21
	v_add_f32_e32 v15, v15, v80
	v_add_f32_e32 v16, v29, v16
	v_fma_f32 v80, v53, s1, -v84
	v_add_f32_e32 v19, v19, v20
	v_mov_b32_e32 v20, v70
	v_add_f32_e32 v27, v27, v28
	v_add_f32_e32 v28, v29, v35
	;; [unrolled: 1-line block ×3, first 2 shown]
	v_mov_b32_e32 v11, v100
	v_mul_f32_e32 v101, 0x3eedf032, v22
	v_fmac_f32_e32 v81, 0xbf7e222b, v47
	v_add_f32_e32 v16, v16, v80
	v_fma_f32 v80, v56, s4, -v85
	v_fmac_f32_e32 v20, 0x3df6dbef, v6
	v_mul_f32_e32 v73, 0xbf52af12, v51
	v_add_f32_e32 v28, v28, v36
	v_fmac_f32_e32 v11, 0xbf788fa5, v5
	v_mov_b32_e32 v12, v101
	v_add_f32_e32 v15, v15, v81
	v_fmac_f32_e32 v82, 0x3e750f2a, v48
	v_add_f32_e32 v16, v16, v80
	v_fma_f32 v80, v68, s5, -v86
	v_add_f32_e32 v19, v19, v20
	v_fma_f32 v20, v50, s3, -v73
	v_mul_f32_e32 v75, 0xbf6f5d39, v54
	v_add_f32_e32 v28, v28, v38
	v_add_f32_e32 v11, v30, v11
	v_fmac_f32_e32 v12, 0x3f62ad3f, v2
	v_mul_f32_e32 v102, 0xbf29c268, v46
	v_add_f32_e32 v15, v15, v82
	v_add_f32_e32 v16, v16, v80
	v_fma_f32 v80, v71, s0, -v87
	v_fmac_f32_e32 v88, 0x3f52af12, v76
	v_add_f32_e32 v20, v29, v20
	v_fma_f32 v79, v53, s2, -v75
	v_add_f32_e32 v27, v27, v60
	v_add_f32_e32 v28, v28, v39
	;; [unrolled: 1-line block ×3, first 2 shown]
	v_mov_b32_e32 v12, v102
	v_add_f32_e32 v80, v16, v80
	v_add_f32_e32 v16, v15, v88
	v_fma_f32 v15, v77, s3, -v89
	v_add_f32_e32 v20, v20, v79
	v_mul_f32_e32 v79, 0xbe750f2a, v57
	v_add_f32_e32 v27, v27, v61
	v_add_f32_e32 v28, v28, v42
	v_fmac_f32_e32 v12, 0xbf3f9e67, v3
	v_mul_f32_e32 v103, 0x3f52af12, v47
	v_add_f32_e32 v15, v80, v15
	v_fma_f32 v80, v56, s0, -v79
	v_add_f32_e32 v27, v27, v64
	v_add_f32_e32 v28, v28, v43
	;; [unrolled: 1-line block ×3, first 2 shown]
	v_mov_b32_e32 v12, v103
	v_add_f32_e32 v20, v20, v80
	v_mul_f32_e32 v80, 0x3f29c268, v69
	v_add_f32_e32 v27, v27, v65
	v_add_f32_e32 v28, v45, v28
	v_fmac_f32_e32 v12, 0x3f116cb1, v4
	v_mul_f32_e32 v104, 0xbf6f5d39, v48
	v_fma_f32 v81, v68, s1, -v80
	v_add_f32_e32 v27, v67, v27
	v_add_f32_e32 v28, v44, v28
	;; [unrolled: 1-line block ×3, first 2 shown]
	v_mov_b32_e32 v12, v104
	v_add_f32_e32 v20, v20, v81
	v_mul_f32_e32 v81, 0x3f7e222b, v72
	v_add_f32_e32 v27, v66, v27
	v_add_f32_e32 v28, v41, v28
	v_fmac_f32_e32 v12, 0xbeb58ec6, v6
	v_mul_f32_e32 v105, 0xbe750f2a, v51
	v_fma_f32 v82, v71, s5, -v81
	v_mul_f32_e32 v83, 0x3eedf032, v76
	v_add_f32_e32 v27, v63, v27
	v_add_f32_e32 v28, v40, v28
	;; [unrolled: 1-line block ×3, first 2 shown]
	v_fma_f32 v12, v50, s0, -v105
	v_mul_f32_e32 v106, 0x3eedf032, v54
	v_add_f32_e32 v82, v20, v82
	v_mov_b32_e32 v20, v83
	v_add_f32_e32 v27, v62, v27
	v_add_f32_e32 v28, v37, v28
	;; [unrolled: 1-line block ×3, first 2 shown]
	v_fma_f32 v107, v53, s4, -v106
	v_fmac_f32_e32 v20, 0x3f62ad3f, v74
	v_mul_f32_e32 v84, 0x3eedf032, v78
	v_add_f32_e32 v27, v59, v27
	v_add_f32_e32 v35, v23, v28
	v_fma_f32 v23, v5, s0, -v100
	v_add_f32_e32 v12, v12, v107
	v_mul_f32_e32 v107, 0xbf29c268, v57
	v_add_f32_e32 v20, v19, v20
	v_fma_f32 v19, v77, s4, -v84
	v_add_f32_e32 v36, v31, v27
	v_add_f32_e32 v23, v30, v23
	v_fma_f32 v27, v2, s4, -v101
	v_fma_f32 v108, v56, s1, -v107
	v_add_f32_e32 v19, v82, v19
	v_mul_f32_e32 v82, 0xbeedf032, v21
	v_add_f32_e32 v23, v23, v27
	v_fma_f32 v27, v3, s1, -v102
	v_add_f32_e32 v12, v12, v108
	v_mul_f32_e32 v108, 0x3f52af12, v69
	v_fmac_f32_e32 v13, 0xbf29c268, v21
	v_mov_b32_e32 v21, v82
	v_mul_f32_e32 v85, 0xbf52af12, v22
	v_add_f32_e32 v23, v23, v27
	v_fma_f32 v27, v4, s3, -v103
	v_fma_f32 v109, v68, s3, -v108
	v_fmac_f32_e32 v14, 0x3f7e222b, v22
	v_fmac_f32_e32 v21, 0x3f62ad3f, v5
	v_mov_b32_e32 v22, v85
	v_add_f32_e32 v23, v23, v27
	v_fma_f32 v27, v6, s2, -v104
	v_fmac_f32_e32 v105, 0xbf788fa5, v50
	v_add_f32_e32 v12, v12, v109
	v_mul_f32_e32 v109, 0xbf6f5d39, v72
	v_fmac_f32_e32 v90, 0xbf52af12, v46
	v_add_f32_e32 v21, v30, v21
	v_fmac_f32_e32 v22, 0x3f116cb1, v2
	v_mul_f32_e32 v46, 0xbf7e222b, v46
	v_add_f32_e32 v23, v23, v27
	v_add_f32_e32 v27, v29, v105
	v_fmac_f32_e32 v106, 0x3f62ad3f, v53
	v_fma_f32 v110, v71, s2, -v109
	v_mul_f32_e32 v111, 0x3f7e222b, v76
	v_add_f32_e32 v21, v21, v22
	v_mov_b32_e32 v22, v46
	v_add_f32_e32 v27, v27, v106
	v_fmac_f32_e32 v107, 0xbf3f9e67, v56
	v_add_f32_e32 v110, v12, v110
	v_mov_b32_e32 v12, v111
	v_fmac_f32_e32 v91, 0x3e750f2a, v47
	v_fmac_f32_e32 v22, 0x3df6dbef, v3
	v_mul_f32_e32 v47, 0xbf6f5d39, v47
	v_add_f32_e32 v27, v27, v107
	v_fmac_f32_e32 v108, 0x3f116cb1, v68
	v_fmac_f32_e32 v12, 0x3df6dbef, v74
	v_mul_f32_e32 v112, 0x3f7e222b, v78
	v_add_f32_e32 v21, v21, v22
	v_mov_b32_e32 v22, v47
	v_add_f32_e32 v27, v27, v108
	v_fmac_f32_e32 v109, 0xbeb58ec6, v71
	v_fma_f32 v28, v74, s5, -v111
	v_add_f32_e32 v12, v11, v12
	v_fma_f32 v11, v77, s5, -v112
	v_fmac_f32_e32 v92, 0x3eedf032, v48
	v_fmac_f32_e32 v22, 0xbeb58ec6, v4
	v_mul_f32_e32 v48, 0xbf29c268, v48
	v_add_f32_e32 v27, v27, v109
	v_add_f32_e32 v38, v23, v28
	v_fmac_f32_e32 v112, 0x3df6dbef, v77
	v_fma_f32 v23, v5, s3, -v49
	v_add_f32_e32 v21, v21, v22
	v_mov_b32_e32 v22, v48
	v_add_f32_e32 v37, v27, v112
	v_add_f32_e32 v23, v30, v23
	v_fma_f32 v27, v2, s2, -v52
	v_fmac_f32_e32 v22, 0xbf3f9e67, v6
	v_mul_f32_e32 v51, 0xbeedf032, v51
	v_add_f32_e32 v23, v23, v27
	v_fma_f32 v27, v3, s0, -v55
	v_add_f32_e32 v21, v21, v22
	v_fma_f32 v22, v50, s4, -v51
	v_mul_f32_e32 v54, 0xbf52af12, v54
	v_add_f32_e32 v23, v23, v27
	v_fma_f32 v27, v4, s1, -v58
	v_add_f32_e32 v22, v29, v22
	v_fma_f32 v86, v53, s3, -v54
	v_mul_f32_e32 v57, 0xbf7e222b, v57
	v_add_f32_e32 v23, v23, v27
	v_fma_f32 v27, v6, s5, -v70
	v_fma_f32 v5, v5, s4, -v82
	v_add_f32_e32 v22, v22, v86
	v_fma_f32 v86, v56, s5, -v57
	v_mul_f32_e32 v69, 0xbf6f5d39, v69
	v_add_f32_e32 v23, v23, v27
	v_fma_f32 v28, v74, s4, -v83
	v_fmac_f32_e32 v51, 0x3f62ad3f, v50
	v_add_f32_e32 v5, v30, v5
	v_fma_f32 v2, v2, s3, -v85
	v_add_f32_e32 v22, v22, v86
	v_fma_f32 v86, v68, s2, -v69
	v_mul_f32_e32 v72, 0xbf29c268, v72
	v_add_f32_e32 v40, v23, v28
	v_add_f32_e32 v23, v29, v51
	;; [unrolled: 1-line block ×3, first 2 shown]
	v_fma_f32 v3, v3, s5, -v46
	v_fmac_f32_e32 v54, 0x3f116cb1, v53
	v_fmac_f32_e32 v98, 0xbf6f5d39, v76
	v_add_f32_e32 v22, v22, v86
	v_fma_f32 v86, v71, s1, -v72
	v_mul_f32_e32 v76, 0xbe750f2a, v76
	v_add_f32_e32 v2, v2, v3
	v_fma_f32 v3, v4, s2, -v47
	v_add_f32_e32 v4, v23, v54
	v_fmac_f32_e32 v57, 0x3df6dbef, v56
	v_add_f32_e32 v86, v22, v86
	v_mov_b32_e32 v22, v76
	v_add_f32_e32 v4, v4, v57
	v_fmac_f32_e32 v69, 0xbeb58ec6, v68
	v_fmac_f32_e32 v22, 0xbf788fa5, v74
	v_mul_f32_e32 v78, 0xbe750f2a, v78
	v_add_f32_e32 v2, v2, v3
	v_fma_f32 v3, v6, s1, -v48
	v_add_f32_e32 v4, v4, v69
	v_fmac_f32_e32 v72, 0xbf3f9e67, v71
	v_add_f32_e32 v22, v21, v22
	v_fma_f32 v21, v77, s0, -v78
	v_fmac_f32_e32 v73, 0x3f116cb1, v50
	v_add_f32_e32 v2, v2, v3
	v_fma_f32 v3, v74, s0, -v76
	v_add_f32_e32 v4, v4, v72
	v_fmac_f32_e32 v78, 0xbf788fa5, v77
	v_add_f32_e32 v27, v29, v73
	v_fmac_f32_e32 v75, 0xbeb58ec6, v53
	v_add_f32_e32 v3, v2, v3
	v_add_f32_e32 v2, v4, v78
	v_lshlrev_b64 v[4:5], 3, v[33:34]
	v_add_f32_e32 v27, v27, v75
	v_fmac_f32_e32 v79, 0xbf788fa5, v56
	v_add_f32_e32 v27, v27, v79
	v_fmac_f32_e32 v80, 0xbf3f9e67, v68
	v_mov_b32_e32 v6, s11
	v_add_co_u32_e32 v23, vcc, s10, v4
	v_add_f32_e32 v13, v30, v13
	v_add_f32_e32 v27, v27, v80
	v_fmac_f32_e32 v81, 0x3df6dbef, v71
	v_addc_co_u32_e32 v6, vcc, v6, v5, vcc
	v_lshlrev_b64 v[4:5], 3, v[24:25]
	v_add_f32_e32 v13, v13, v14
	v_fma_f32 v14, v50, s1, -v93
	v_add_f32_e32 v27, v27, v81
	v_fmac_f32_e32 v84, 0x3f62ad3f, v77
	v_add_f32_e32 v13, v13, v90
	v_add_f32_e32 v14, v29, v14
	v_fma_f32 v90, v53, s5, -v94
	v_add_f32_e32 v39, v27, v84
	v_mov_b32_e32 v27, v32
	v_add_co_u32_e32 v23, vcc, v23, v4
	v_add_f32_e32 v14, v14, v90
	v_fma_f32 v90, v56, s3, -v95
	v_addc_co_u32_e32 v6, vcc, v6, v5, vcc
	v_lshlrev_b64 v[4:5], 3, v[26:27]
	v_add_f32_e32 v13, v13, v91
	v_add_f32_e32 v14, v14, v90
	v_fma_f32 v90, v68, s0, -v96
	v_add_f32_e32 v13, v13, v92
	v_add_f32_e32 v14, v14, v90
	v_fma_f32 v90, v71, s4, -v97
	v_add_co_u32_e32 v4, vcc, v23, v4
	v_add_f32_e32 v90, v14, v90
	v_add_f32_e32 v14, v13, v98
	v_fma_f32 v13, v77, s2, -v99
	v_addc_co_u32_e32 v5, vcc, v6, v5, vcc
	v_add_f32_e32 v11, v110, v11
	v_add_f32_e32 v13, v90, v13
	;; [unrolled: 1-line block ×3, first 2 shown]
	global_store_dwordx2 v[4:5], v[35:36], off
	global_store_dwordx2 v[4:5], v[21:22], off offset:96
	global_store_dwordx2 v[4:5], v[19:20], off offset:192
	global_store_dwordx2 v[4:5], v[17:18], off offset:288
	global_store_dwordx2 v[4:5], v[15:16], off offset:384
	global_store_dwordx2 v[4:5], v[13:14], off offset:480
	global_store_dwordx2 v[4:5], v[11:12], off offset:576
	global_store_dwordx2 v[4:5], v[37:38], off offset:672
	global_store_dwordx2 v[4:5], v[9:10], off offset:768
	global_store_dwordx2 v[4:5], v[7:8], off offset:864
	global_store_dwordx2 v[4:5], v[0:1], off offset:960
	global_store_dwordx2 v[4:5], v[39:40], off offset:1056
	global_store_dwordx2 v[4:5], v[2:3], off offset:1152
.LBB0_16:
	s_endpgm
	.section	.rodata,"a",@progbits
	.p2align	6, 0x0
	.amdhsa_kernel fft_rtc_fwd_len156_factors_3_4_13_wgs_117_tpt_13_sp_op_CI_CI_unitstride_sbrr_dirReg
		.amdhsa_group_segment_fixed_size 0
		.amdhsa_private_segment_fixed_size 0
		.amdhsa_kernarg_size 104
		.amdhsa_user_sgpr_count 6
		.amdhsa_user_sgpr_private_segment_buffer 1
		.amdhsa_user_sgpr_dispatch_ptr 0
		.amdhsa_user_sgpr_queue_ptr 0
		.amdhsa_user_sgpr_kernarg_segment_ptr 1
		.amdhsa_user_sgpr_dispatch_id 0
		.amdhsa_user_sgpr_flat_scratch_init 0
		.amdhsa_user_sgpr_private_segment_size 0
		.amdhsa_uses_dynamic_stack 0
		.amdhsa_system_sgpr_private_segment_wavefront_offset 0
		.amdhsa_system_sgpr_workgroup_id_x 1
		.amdhsa_system_sgpr_workgroup_id_y 0
		.amdhsa_system_sgpr_workgroup_id_z 0
		.amdhsa_system_sgpr_workgroup_info 0
		.amdhsa_system_vgpr_workitem_id 0
		.amdhsa_next_free_vgpr 113
		.amdhsa_next_free_sgpr 28
		.amdhsa_reserve_vcc 1
		.amdhsa_reserve_flat_scratch 0
		.amdhsa_float_round_mode_32 0
		.amdhsa_float_round_mode_16_64 0
		.amdhsa_float_denorm_mode_32 3
		.amdhsa_float_denorm_mode_16_64 3
		.amdhsa_dx10_clamp 1
		.amdhsa_ieee_mode 1
		.amdhsa_fp16_overflow 0
		.amdhsa_exception_fp_ieee_invalid_op 0
		.amdhsa_exception_fp_denorm_src 0
		.amdhsa_exception_fp_ieee_div_zero 0
		.amdhsa_exception_fp_ieee_overflow 0
		.amdhsa_exception_fp_ieee_underflow 0
		.amdhsa_exception_fp_ieee_inexact 0
		.amdhsa_exception_int_div_zero 0
	.end_amdhsa_kernel
	.text
.Lfunc_end0:
	.size	fft_rtc_fwd_len156_factors_3_4_13_wgs_117_tpt_13_sp_op_CI_CI_unitstride_sbrr_dirReg, .Lfunc_end0-fft_rtc_fwd_len156_factors_3_4_13_wgs_117_tpt_13_sp_op_CI_CI_unitstride_sbrr_dirReg
                                        ; -- End function
	.section	.AMDGPU.csdata,"",@progbits
; Kernel info:
; codeLenInByte = 6164
; NumSgprs: 32
; NumVgprs: 113
; ScratchSize: 0
; MemoryBound: 0
; FloatMode: 240
; IeeeMode: 1
; LDSByteSize: 0 bytes/workgroup (compile time only)
; SGPRBlocks: 3
; VGPRBlocks: 28
; NumSGPRsForWavesPerEU: 32
; NumVGPRsForWavesPerEU: 113
; Occupancy: 2
; WaveLimiterHint : 1
; COMPUTE_PGM_RSRC2:SCRATCH_EN: 0
; COMPUTE_PGM_RSRC2:USER_SGPR: 6
; COMPUTE_PGM_RSRC2:TRAP_HANDLER: 0
; COMPUTE_PGM_RSRC2:TGID_X_EN: 1
; COMPUTE_PGM_RSRC2:TGID_Y_EN: 0
; COMPUTE_PGM_RSRC2:TGID_Z_EN: 0
; COMPUTE_PGM_RSRC2:TIDIG_COMP_CNT: 0
	.type	__hip_cuid_172b9439df66db44,@object ; @__hip_cuid_172b9439df66db44
	.section	.bss,"aw",@nobits
	.globl	__hip_cuid_172b9439df66db44
__hip_cuid_172b9439df66db44:
	.byte	0                               ; 0x0
	.size	__hip_cuid_172b9439df66db44, 1

	.ident	"AMD clang version 19.0.0git (https://github.com/RadeonOpenCompute/llvm-project roc-6.4.0 25133 c7fe45cf4b819c5991fe208aaa96edf142730f1d)"
	.section	".note.GNU-stack","",@progbits
	.addrsig
	.addrsig_sym __hip_cuid_172b9439df66db44
	.amdgpu_metadata
---
amdhsa.kernels:
  - .args:
      - .actual_access:  read_only
        .address_space:  global
        .offset:         0
        .size:           8
        .value_kind:     global_buffer
      - .offset:         8
        .size:           8
        .value_kind:     by_value
      - .actual_access:  read_only
        .address_space:  global
        .offset:         16
        .size:           8
        .value_kind:     global_buffer
      - .actual_access:  read_only
        .address_space:  global
        .offset:         24
        .size:           8
        .value_kind:     global_buffer
      - .actual_access:  read_only
        .address_space:  global
        .offset:         32
        .size:           8
        .value_kind:     global_buffer
      - .offset:         40
        .size:           8
        .value_kind:     by_value
      - .actual_access:  read_only
        .address_space:  global
        .offset:         48
        .size:           8
        .value_kind:     global_buffer
      - .actual_access:  read_only
        .address_space:  global
        .offset:         56
        .size:           8
        .value_kind:     global_buffer
      - .offset:         64
        .size:           4
        .value_kind:     by_value
      - .actual_access:  read_only
        .address_space:  global
        .offset:         72
        .size:           8
        .value_kind:     global_buffer
      - .actual_access:  read_only
        .address_space:  global
        .offset:         80
        .size:           8
        .value_kind:     global_buffer
      - .actual_access:  read_only
        .address_space:  global
        .offset:         88
        .size:           8
        .value_kind:     global_buffer
      - .actual_access:  write_only
        .address_space:  global
        .offset:         96
        .size:           8
        .value_kind:     global_buffer
    .group_segment_fixed_size: 0
    .kernarg_segment_align: 8
    .kernarg_segment_size: 104
    .language:       OpenCL C
    .language_version:
      - 2
      - 0
    .max_flat_workgroup_size: 117
    .name:           fft_rtc_fwd_len156_factors_3_4_13_wgs_117_tpt_13_sp_op_CI_CI_unitstride_sbrr_dirReg
    .private_segment_fixed_size: 0
    .sgpr_count:     32
    .sgpr_spill_count: 0
    .symbol:         fft_rtc_fwd_len156_factors_3_4_13_wgs_117_tpt_13_sp_op_CI_CI_unitstride_sbrr_dirReg.kd
    .uniform_work_group_size: 1
    .uses_dynamic_stack: false
    .vgpr_count:     113
    .vgpr_spill_count: 0
    .wavefront_size: 64
amdhsa.target:   amdgcn-amd-amdhsa--gfx906
amdhsa.version:
  - 1
  - 2
...

	.end_amdgpu_metadata
